;; amdgpu-corpus repo=ROCm/rocFFT kind=compiled arch=gfx906 opt=O3
	.text
	.amdgcn_target "amdgcn-amd-amdhsa--gfx906"
	.amdhsa_code_object_version 6
	.protected	fft_rtc_fwd_len728_factors_13_7_8_wgs_104_tpt_104_halfLds_sp_op_CI_CI_sbrr_dirReg ; -- Begin function fft_rtc_fwd_len728_factors_13_7_8_wgs_104_tpt_104_halfLds_sp_op_CI_CI_sbrr_dirReg
	.globl	fft_rtc_fwd_len728_factors_13_7_8_wgs_104_tpt_104_halfLds_sp_op_CI_CI_sbrr_dirReg
	.p2align	8
	.type	fft_rtc_fwd_len728_factors_13_7_8_wgs_104_tpt_104_halfLds_sp_op_CI_CI_sbrr_dirReg,@function
fft_rtc_fwd_len728_factors_13_7_8_wgs_104_tpt_104_halfLds_sp_op_CI_CI_sbrr_dirReg: ; @fft_rtc_fwd_len728_factors_13_7_8_wgs_104_tpt_104_halfLds_sp_op_CI_CI_sbrr_dirReg
; %bb.0:
	s_load_dwordx4 s[16:19], s[4:5], 0x18
	s_load_dwordx4 s[12:15], s[4:5], 0x0
	;; [unrolled: 1-line block ×3, first 2 shown]
	v_mul_u32_u24_e32 v1, 0x277, v0
	v_mov_b32_e32 v7, 0
	s_waitcnt lgkmcnt(0)
	s_load_dwordx2 s[22:23], s[16:17], 0x0
	s_load_dwordx2 s[20:21], s[18:19], 0x0
	v_cmp_lt_u64_e64 s[0:1], s[14:15], 2
	v_mov_b32_e32 v5, 0
	v_add_u32_sdwa v9, s6, v1 dst_sel:DWORD dst_unused:UNUSED_PAD src0_sel:DWORD src1_sel:WORD_1
	v_mov_b32_e32 v10, v7
	s_and_b64 vcc, exec, s[0:1]
	v_mov_b32_e32 v6, 0
	s_cbranch_vccnz .LBB0_8
; %bb.1:
	s_load_dwordx2 s[0:1], s[4:5], 0x10
	s_add_u32 s2, s18, 8
	s_addc_u32 s3, s19, 0
	s_add_u32 s6, s16, 8
	s_addc_u32 s7, s17, 0
	v_mov_b32_e32 v5, 0
	s_waitcnt lgkmcnt(0)
	s_add_u32 s24, s0, 8
	v_mov_b32_e32 v6, 0
	v_mov_b32_e32 v1, v5
	s_addc_u32 s25, s1, 0
	s_mov_b64 s[26:27], 1
	v_mov_b32_e32 v2, v6
.LBB0_2:                                ; =>This Inner Loop Header: Depth=1
	s_load_dwordx2 s[28:29], s[24:25], 0x0
                                        ; implicit-def: $vgpr3_vgpr4
	s_waitcnt lgkmcnt(0)
	v_or_b32_e32 v8, s29, v10
	v_cmp_ne_u64_e32 vcc, 0, v[7:8]
	s_and_saveexec_b64 s[0:1], vcc
	s_xor_b64 s[30:31], exec, s[0:1]
	s_cbranch_execz .LBB0_4
; %bb.3:                                ;   in Loop: Header=BB0_2 Depth=1
	v_cvt_f32_u32_e32 v3, s28
	v_cvt_f32_u32_e32 v4, s29
	s_sub_u32 s0, 0, s28
	s_subb_u32 s1, 0, s29
	v_mac_f32_e32 v3, 0x4f800000, v4
	v_rcp_f32_e32 v3, v3
	v_mul_f32_e32 v3, 0x5f7ffffc, v3
	v_mul_f32_e32 v4, 0x2f800000, v3
	v_trunc_f32_e32 v4, v4
	v_mac_f32_e32 v3, 0xcf800000, v4
	v_cvt_u32_f32_e32 v4, v4
	v_cvt_u32_f32_e32 v3, v3
	v_mul_lo_u32 v8, s0, v4
	v_mul_hi_u32 v11, s0, v3
	v_mul_lo_u32 v13, s1, v3
	v_mul_lo_u32 v12, s0, v3
	v_add_u32_e32 v8, v11, v8
	v_add_u32_e32 v8, v8, v13
	v_mul_hi_u32 v11, v3, v12
	v_mul_lo_u32 v13, v3, v8
	v_mul_hi_u32 v15, v3, v8
	v_mul_hi_u32 v14, v4, v12
	v_mul_lo_u32 v12, v4, v12
	v_mul_hi_u32 v16, v4, v8
	v_add_co_u32_e32 v11, vcc, v11, v13
	v_addc_co_u32_e32 v13, vcc, 0, v15, vcc
	v_mul_lo_u32 v8, v4, v8
	v_add_co_u32_e32 v11, vcc, v11, v12
	v_addc_co_u32_e32 v11, vcc, v13, v14, vcc
	v_addc_co_u32_e32 v12, vcc, 0, v16, vcc
	v_add_co_u32_e32 v8, vcc, v11, v8
	v_addc_co_u32_e32 v11, vcc, 0, v12, vcc
	v_add_co_u32_e32 v3, vcc, v3, v8
	v_addc_co_u32_e32 v4, vcc, v4, v11, vcc
	v_mul_lo_u32 v8, s0, v4
	v_mul_hi_u32 v11, s0, v3
	v_mul_lo_u32 v12, s1, v3
	v_mul_lo_u32 v13, s0, v3
	v_add_u32_e32 v8, v11, v8
	v_add_u32_e32 v8, v8, v12
	v_mul_lo_u32 v14, v3, v8
	v_mul_hi_u32 v15, v3, v13
	v_mul_hi_u32 v16, v3, v8
	;; [unrolled: 1-line block ×3, first 2 shown]
	v_mul_lo_u32 v13, v4, v13
	v_mul_hi_u32 v11, v4, v8
	v_add_co_u32_e32 v14, vcc, v15, v14
	v_addc_co_u32_e32 v15, vcc, 0, v16, vcc
	v_mul_lo_u32 v8, v4, v8
	v_add_co_u32_e32 v13, vcc, v14, v13
	v_addc_co_u32_e32 v12, vcc, v15, v12, vcc
	v_addc_co_u32_e32 v11, vcc, 0, v11, vcc
	v_add_co_u32_e32 v8, vcc, v12, v8
	v_addc_co_u32_e32 v11, vcc, 0, v11, vcc
	v_add_co_u32_e32 v8, vcc, v3, v8
	v_addc_co_u32_e32 v11, vcc, v4, v11, vcc
	v_mad_u64_u32 v[3:4], s[0:1], v9, v11, 0
	v_mul_hi_u32 v12, v9, v8
	v_add_co_u32_e32 v13, vcc, v12, v3
	v_addc_co_u32_e32 v14, vcc, 0, v4, vcc
	v_mad_u64_u32 v[3:4], s[0:1], v10, v8, 0
	v_mad_u64_u32 v[11:12], s[0:1], v10, v11, 0
	v_add_co_u32_e32 v3, vcc, v13, v3
	v_addc_co_u32_e32 v3, vcc, v14, v4, vcc
	v_addc_co_u32_e32 v4, vcc, 0, v12, vcc
	v_add_co_u32_e32 v8, vcc, v3, v11
	v_addc_co_u32_e32 v11, vcc, 0, v4, vcc
	v_mul_lo_u32 v12, s29, v8
	v_mul_lo_u32 v13, s28, v11
	v_mad_u64_u32 v[3:4], s[0:1], s28, v8, 0
	v_add3_u32 v4, v4, v13, v12
	v_sub_u32_e32 v12, v10, v4
	v_mov_b32_e32 v13, s29
	v_sub_co_u32_e32 v3, vcc, v9, v3
	v_subb_co_u32_e64 v12, s[0:1], v12, v13, vcc
	v_subrev_co_u32_e64 v13, s[0:1], s28, v3
	v_subbrev_co_u32_e64 v12, s[0:1], 0, v12, s[0:1]
	v_cmp_le_u32_e64 s[0:1], s29, v12
	v_cndmask_b32_e64 v14, 0, -1, s[0:1]
	v_cmp_le_u32_e64 s[0:1], s28, v13
	v_cndmask_b32_e64 v13, 0, -1, s[0:1]
	v_cmp_eq_u32_e64 s[0:1], s29, v12
	v_cndmask_b32_e64 v12, v14, v13, s[0:1]
	v_add_co_u32_e64 v13, s[0:1], 2, v8
	v_addc_co_u32_e64 v14, s[0:1], 0, v11, s[0:1]
	v_add_co_u32_e64 v15, s[0:1], 1, v8
	v_addc_co_u32_e64 v16, s[0:1], 0, v11, s[0:1]
	v_subb_co_u32_e32 v4, vcc, v10, v4, vcc
	v_cmp_ne_u32_e64 s[0:1], 0, v12
	v_cmp_le_u32_e32 vcc, s29, v4
	v_cndmask_b32_e64 v12, v16, v14, s[0:1]
	v_cndmask_b32_e64 v14, 0, -1, vcc
	v_cmp_le_u32_e32 vcc, s28, v3
	v_cndmask_b32_e64 v3, 0, -1, vcc
	v_cmp_eq_u32_e32 vcc, s29, v4
	v_cndmask_b32_e32 v3, v14, v3, vcc
	v_cmp_ne_u32_e32 vcc, 0, v3
	v_cndmask_b32_e64 v3, v15, v13, s[0:1]
	v_cndmask_b32_e32 v4, v11, v12, vcc
	v_cndmask_b32_e32 v3, v8, v3, vcc
.LBB0_4:                                ;   in Loop: Header=BB0_2 Depth=1
	s_andn2_saveexec_b64 s[0:1], s[30:31]
	s_cbranch_execz .LBB0_6
; %bb.5:                                ;   in Loop: Header=BB0_2 Depth=1
	v_cvt_f32_u32_e32 v3, s28
	s_sub_i32 s30, 0, s28
	v_rcp_iflag_f32_e32 v3, v3
	v_mul_f32_e32 v3, 0x4f7ffffe, v3
	v_cvt_u32_f32_e32 v3, v3
	v_mul_lo_u32 v4, s30, v3
	v_mul_hi_u32 v4, v3, v4
	v_add_u32_e32 v3, v3, v4
	v_mul_hi_u32 v3, v9, v3
	v_mul_lo_u32 v4, v3, s28
	v_add_u32_e32 v8, 1, v3
	v_sub_u32_e32 v4, v9, v4
	v_subrev_u32_e32 v11, s28, v4
	v_cmp_le_u32_e32 vcc, s28, v4
	v_cndmask_b32_e32 v4, v4, v11, vcc
	v_cndmask_b32_e32 v3, v3, v8, vcc
	v_add_u32_e32 v8, 1, v3
	v_cmp_le_u32_e32 vcc, s28, v4
	v_cndmask_b32_e32 v3, v3, v8, vcc
	v_mov_b32_e32 v4, v7
.LBB0_6:                                ;   in Loop: Header=BB0_2 Depth=1
	s_or_b64 exec, exec, s[0:1]
	v_mul_lo_u32 v8, v4, s28
	v_mul_lo_u32 v13, v3, s29
	v_mad_u64_u32 v[11:12], s[0:1], v3, s28, 0
	s_load_dwordx2 s[0:1], s[6:7], 0x0
	s_load_dwordx2 s[28:29], s[2:3], 0x0
	v_add3_u32 v8, v12, v13, v8
	v_sub_co_u32_e32 v9, vcc, v9, v11
	v_subb_co_u32_e32 v8, vcc, v10, v8, vcc
	s_waitcnt lgkmcnt(0)
	v_mul_lo_u32 v10, s0, v8
	v_mul_lo_u32 v11, s1, v9
	v_mad_u64_u32 v[5:6], s[0:1], s0, v9, v[5:6]
	v_mul_lo_u32 v8, s28, v8
	v_mul_lo_u32 v12, s29, v9
	v_mad_u64_u32 v[1:2], s[0:1], s28, v9, v[1:2]
	s_add_u32 s26, s26, 1
	s_addc_u32 s27, s27, 0
	s_add_u32 s2, s2, 8
	v_add3_u32 v2, v12, v2, v8
	s_addc_u32 s3, s3, 0
	v_mov_b32_e32 v8, s14
	s_add_u32 s6, s6, 8
	v_mov_b32_e32 v9, s15
	s_addc_u32 s7, s7, 0
	v_cmp_ge_u64_e32 vcc, s[26:27], v[8:9]
	s_add_u32 s24, s24, 8
	v_add3_u32 v6, v11, v6, v10
	s_addc_u32 s25, s25, 0
	s_cbranch_vccnz .LBB0_9
; %bb.7:                                ;   in Loop: Header=BB0_2 Depth=1
	v_mov_b32_e32 v10, v4
	v_mov_b32_e32 v9, v3
	s_branch .LBB0_2
.LBB0_8:
	v_mov_b32_e32 v1, v5
	v_mov_b32_e32 v3, v9
	;; [unrolled: 1-line block ×4, first 2 shown]
.LBB0_9:
	s_load_dwordx2 s[0:1], s[4:5], 0x28
	s_mov_b32 s4, 0x2762763
	v_mul_hi_u32 v7, v0, s4
	s_lshl_b64 s[2:3], s[14:15], 3
	s_add_u32 s4, s18, s2
	s_waitcnt lgkmcnt(0)
	v_cmp_gt_u64_e32 vcc, s[0:1], v[3:4]
	v_mul_u32_u24_e32 v7, 0x68, v7
	v_sub_u32_e32 v0, v0, v7
	v_cmp_gt_u32_e64 s[0:1], 56, v0
	s_addc_u32 s5, s19, s3
	s_and_b64 s[14:15], vcc, s[0:1]
	v_mov_b32_e32 v9, 0
	v_mov_b32_e32 v8, 0
                                        ; implicit-def: $vgpr11
                                        ; implicit-def: $vgpr13
                                        ; implicit-def: $vgpr15
                                        ; implicit-def: $vgpr17
                                        ; implicit-def: $vgpr19
                                        ; implicit-def: $vgpr21
                                        ; implicit-def: $vgpr25
                                        ; implicit-def: $vgpr23
                                        ; implicit-def: $vgpr27
                                        ; implicit-def: $vgpr29
                                        ; implicit-def: $vgpr31
                                        ; implicit-def: $vgpr33
	s_and_saveexec_b64 s[6:7], s[14:15]
	s_cbranch_execz .LBB0_11
; %bb.10:
	s_add_u32 s2, s16, s2
	s_addc_u32 s3, s17, s3
	s_load_dwordx2 s[2:3], s[2:3], 0x0
	v_mad_u64_u32 v[7:8], s[14:15], s22, v0, 0
	v_lshlrev_b64 v[5:6], 3, v[5:6]
	s_waitcnt lgkmcnt(0)
	v_mul_lo_u32 v13, s3, v3
	v_mul_lo_u32 v14, s2, v4
	v_mad_u64_u32 v[9:10], s[2:3], s2, v3, 0
	v_mad_u64_u32 v[11:12], s[2:3], s23, v0, v[8:9]
	v_add3_u32 v10, v10, v14, v13
	v_lshlrev_b64 v[9:10], 3, v[9:10]
	v_mov_b32_e32 v8, v11
	v_mov_b32_e32 v11, s9
	v_add_co_u32_e64 v12, s[2:3], s8, v9
	v_add_u32_e32 v13, 56, v0
	v_addc_co_u32_e64 v11, s[2:3], v11, v10, s[2:3]
	v_mad_u64_u32 v[9:10], s[2:3], s22, v13, 0
	v_add_co_u32_e64 v15, s[2:3], v12, v5
	v_addc_co_u32_e64 v16, s[2:3], v11, v6, s[2:3]
	v_lshlrev_b64 v[5:6], 3, v[7:8]
	v_mov_b32_e32 v7, v10
	v_mad_u64_u32 v[7:8], s[2:3], s23, v13, v[7:8]
	v_add_u32_e32 v13, 0x70, v0
	v_mad_u64_u32 v[11:12], s[2:3], s22, v13, 0
	v_mov_b32_e32 v10, v7
	v_add_co_u32_e64 v5, s[2:3], v15, v5
	v_lshlrev_b64 v[7:8], 3, v[9:10]
	v_mov_b32_e32 v9, v12
	v_addc_co_u32_e64 v6, s[2:3], v16, v6, s[2:3]
	v_mad_u64_u32 v[9:10], s[2:3], s23, v13, v[9:10]
	v_add_u32_e32 v10, 0xa8, v0
	v_mad_u64_u32 v[13:14], s[2:3], s22, v10, 0
	v_add_co_u32_e64 v34, s[2:3], v15, v7
	v_mov_b32_e32 v12, v9
	v_mov_b32_e32 v9, v14
	v_addc_co_u32_e64 v35, s[2:3], v16, v8, s[2:3]
	v_lshlrev_b64 v[7:8], 3, v[11:12]
	v_mad_u64_u32 v[9:10], s[2:3], s23, v10, v[9:10]
	v_add_u32_e32 v12, 0xe0, v0
	v_mad_u64_u32 v[10:11], s[2:3], s22, v12, 0
	v_add_co_u32_e64 v36, s[2:3], v15, v7
	v_mov_b32_e32 v14, v9
	v_mov_b32_e32 v9, v11
	v_addc_co_u32_e64 v37, s[2:3], v16, v8, s[2:3]
	v_lshlrev_b64 v[7:8], 3, v[13:14]
	v_mad_u64_u32 v[11:12], s[2:3], s23, v12, v[9:10]
	v_add_u32_e32 v14, 0x118, v0
	v_mad_u64_u32 v[12:13], s[2:3], s22, v14, 0
	v_add_co_u32_e64 v38, s[2:3], v15, v7
	v_mov_b32_e32 v9, v13
	v_addc_co_u32_e64 v39, s[2:3], v16, v8, s[2:3]
	v_lshlrev_b64 v[7:8], 3, v[10:11]
	v_mad_u64_u32 v[9:10], s[2:3], s23, v14, v[9:10]
	v_add_u32_e32 v14, 0x150, v0
	v_mad_u64_u32 v[10:11], s[2:3], s22, v14, 0
	v_add_co_u32_e64 v40, s[2:3], v15, v7
	v_mov_b32_e32 v13, v9
	v_mov_b32_e32 v9, v11
	v_addc_co_u32_e64 v41, s[2:3], v16, v8, s[2:3]
	v_lshlrev_b64 v[7:8], 3, v[12:13]
	v_mad_u64_u32 v[11:12], s[2:3], s23, v14, v[9:10]
	v_add_u32_e32 v14, 0x188, v0
	v_mad_u64_u32 v[12:13], s[2:3], s22, v14, 0
	v_add_co_u32_e64 v42, s[2:3], v15, v7
	v_mov_b32_e32 v9, v13
	v_addc_co_u32_e64 v43, s[2:3], v16, v8, s[2:3]
	v_lshlrev_b64 v[7:8], 3, v[10:11]
	v_mad_u64_u32 v[9:10], s[2:3], s23, v14, v[9:10]
	v_or_b32_e32 v14, 0x1c0, v0
	v_mad_u64_u32 v[10:11], s[2:3], s22, v14, 0
	v_add_co_u32_e64 v44, s[2:3], v15, v7
	v_mov_b32_e32 v13, v9
	v_mov_b32_e32 v9, v11
	v_addc_co_u32_e64 v45, s[2:3], v16, v8, s[2:3]
	v_lshlrev_b64 v[7:8], 3, v[12:13]
	v_mad_u64_u32 v[11:12], s[2:3], s23, v14, v[9:10]
	v_add_u32_e32 v14, 0x1f8, v0
	v_mad_u64_u32 v[12:13], s[2:3], s22, v14, 0
	v_add_co_u32_e64 v46, s[2:3], v15, v7
	v_mov_b32_e32 v9, v13
	v_addc_co_u32_e64 v47, s[2:3], v16, v8, s[2:3]
	v_lshlrev_b64 v[7:8], 3, v[10:11]
	v_mad_u64_u32 v[9:10], s[2:3], s23, v14, v[9:10]
	v_add_u32_e32 v14, 0x230, v0
	v_mad_u64_u32 v[10:11], s[2:3], s22, v14, 0
	v_add_co_u32_e64 v48, s[2:3], v15, v7
	v_mov_b32_e32 v13, v9
	v_mov_b32_e32 v9, v11
	v_addc_co_u32_e64 v49, s[2:3], v16, v8, s[2:3]
	v_lshlrev_b64 v[7:8], 3, v[12:13]
	v_mad_u64_u32 v[11:12], s[2:3], s23, v14, v[9:10]
	v_add_u32_e32 v14, 0x268, v0
	v_mad_u64_u32 v[12:13], s[2:3], s22, v14, 0
	v_add_co_u32_e64 v50, s[2:3], v15, v7
	v_mov_b32_e32 v9, v13
	v_addc_co_u32_e64 v51, s[2:3], v16, v8, s[2:3]
	v_lshlrev_b64 v[7:8], 3, v[10:11]
	v_mad_u64_u32 v[9:10], s[2:3], s23, v14, v[9:10]
	v_add_u32_e32 v14, 0x2a0, v0
	v_mad_u64_u32 v[10:11], s[2:3], s22, v14, 0
	v_add_co_u32_e64 v52, s[2:3], v15, v7
	v_mov_b32_e32 v13, v9
	v_mov_b32_e32 v9, v11
	v_addc_co_u32_e64 v53, s[2:3], v16, v8, s[2:3]
	v_lshlrev_b64 v[7:8], 3, v[12:13]
	v_mad_u64_u32 v[11:12], s[2:3], s23, v14, v[9:10]
	v_add_co_u32_e64 v54, s[2:3], v15, v7
	v_addc_co_u32_e64 v55, s[2:3], v16, v8, s[2:3]
	v_lshlrev_b64 v[7:8], 3, v[10:11]
	v_add_co_u32_e64 v56, s[2:3], v15, v7
	v_addc_co_u32_e64 v57, s[2:3], v16, v8, s[2:3]
	global_load_dwordx2 v[8:9], v[5:6], off
	global_load_dwordx2 v[10:11], v[34:35], off
	;; [unrolled: 1-line block ×13, first 2 shown]
.LBB0_11:
	s_or_b64 exec, exec, s[6:7]
	s_waitcnt vmcnt(0)
	v_add_f32_e32 v5, v10, v24
	v_mul_f32_e32 v44, 0xbf788fa5, v5
	v_add_f32_e32 v7, v12, v22
	v_sub_f32_e32 v37, v11, v25
	v_mov_b32_e32 v6, v44
	v_mul_f32_e32 v45, 0x3f62ad3f, v7
	v_fmac_f32_e32 v6, 0xbe750f2a, v37
	v_sub_f32_e32 v38, v13, v23
	v_mov_b32_e32 v34, v45
	v_add_f32_e32 v6, v8, v6
	v_fmac_f32_e32 v34, 0x3eedf032, v38
	v_add_f32_e32 v6, v6, v34
	v_add_f32_e32 v34, v14, v26
	v_mul_f32_e32 v46, 0xbf3f9e67, v34
	v_sub_f32_e32 v39, v15, v27
	v_mov_b32_e32 v35, v46
	v_fmac_f32_e32 v35, 0xbf29c268, v39
	v_add_f32_e32 v6, v6, v35
	v_add_f32_e32 v35, v16, v28
	v_mul_f32_e32 v47, 0x3f116cb1, v35
	v_sub_f32_e32 v41, v17, v29
	v_mov_b32_e32 v36, v47
	;; [unrolled: 6-line block ×4, first 2 shown]
	v_fmac_f32_e32 v50, 0x3f7e222b, v43
	s_mov_b32 s15, 0xbf788fa5
	s_mov_b32 s14, 0x3f62ad3f
	;; [unrolled: 1-line block ×6, first 2 shown]
	v_add_f32_e32 v6, v6, v50
	s_and_saveexec_b64 s[2:3], s[0:1]
	s_cbranch_execz .LBB0_13
; %bb.12:
	v_mul_f32_e32 v50, 0xbe750f2a, v37
	v_mul_f32_e32 v51, 0x3eedf032, v38
	v_sub_f32_e32 v44, v44, v50
	v_mul_f32_e32 v52, 0xbf29c268, v39
	v_add_f32_e32 v44, v8, v44
	v_sub_f32_e32 v45, v45, v51
	v_mul_f32_e32 v53, 0x3f52af12, v41
	v_add_f32_e32 v44, v44, v45
	;; [unrolled: 3-line block ×4, first 2 shown]
	v_sub_f32_e32 v45, v48, v54
	v_add_f32_e32 v44, v44, v45
	v_sub_f32_e32 v45, v49, v55
	v_add_f32_e32 v44, v44, v45
	v_mul_f32_e32 v45, 0xbf29c268, v37
	v_mov_b32_e32 v46, v45
	v_mul_f32_e32 v47, 0x3f7e222b, v38
	v_fmac_f32_e32 v46, 0xbf3f9e67, v5
	v_mov_b32_e32 v48, v47
	v_add_f32_e32 v46, v8, v46
	v_fmac_f32_e32 v48, 0x3df6dbef, v7
	v_add_f32_e32 v46, v46, v48
	v_mul_f32_e32 v48, 0xbf52af12, v39
	v_mov_b32_e32 v49, v48
	v_fmac_f32_e32 v49, 0x3f116cb1, v34
	v_add_f32_e32 v46, v46, v49
	v_mul_f32_e32 v49, 0x3e750f2a, v41
	v_mov_b32_e32 v50, v49
	v_fmac_f32_e32 v50, 0xbf788fa5, v35
	v_fma_f32 v45, v5, s9, -v45
	v_add_f32_e32 v46, v46, v50
	v_mul_f32_e32 v50, 0x3eedf032, v42
	v_add_f32_e32 v45, v8, v45
	v_fma_f32 v47, v7, s6, -v47
	v_mov_b32_e32 v51, v50
	v_add_f32_e32 v45, v45, v47
	v_fma_f32 v47, v34, s8, -v48
	v_fmac_f32_e32 v51, 0x3f62ad3f, v36
	v_add_f32_e32 v45, v45, v47
	v_fma_f32 v47, v35, s15, -v49
	v_add_f32_e32 v46, v46, v51
	v_mul_f32_e32 v51, 0xbf6f5d39, v43
	v_add_f32_e32 v45, v45, v47
	v_fma_f32 v47, v36, s14, -v50
	v_add_f32_e32 v45, v45, v47
	v_fma_f32 v47, v40, s7, -v51
	v_add_f32_e32 v45, v45, v47
	v_mul_f32_e32 v47, 0xbf6f5d39, v37
	v_mov_b32_e32 v48, v47
	v_mul_f32_e32 v49, 0x3f29c268, v38
	v_fmac_f32_e32 v48, 0xbeb58ec6, v5
	v_mov_b32_e32 v50, v49
	v_add_f32_e32 v48, v8, v48
	v_fmac_f32_e32 v50, 0xbf3f9e67, v7
	v_add_f32_e32 v48, v48, v50
	v_mul_f32_e32 v50, 0x3eedf032, v39
	v_mov_b32_e32 v52, v51
	v_mov_b32_e32 v51, v50
	v_fmac_f32_e32 v51, 0x3f62ad3f, v34
	v_fmac_f32_e32 v52, 0xbeb58ec6, v40
	v_add_f32_e32 v48, v48, v51
	v_mul_f32_e32 v51, 0xbf7e222b, v41
	v_add_f32_e32 v46, v46, v52
	v_mov_b32_e32 v52, v51
	v_fmac_f32_e32 v52, 0x3df6dbef, v35
	v_fma_f32 v47, v5, s7, -v47
	v_add_f32_e32 v48, v48, v52
	v_mul_f32_e32 v52, 0x3e750f2a, v42
	v_add_f32_e32 v47, v8, v47
	v_fma_f32 v49, v7, s9, -v49
	v_mov_b32_e32 v53, v52
	v_add_f32_e32 v47, v47, v49
	v_fma_f32 v49, v34, s14, -v50
	v_fmac_f32_e32 v53, 0xbf788fa5, v36
	v_add_f32_e32 v47, v47, v49
	v_fma_f32 v49, v35, s6, -v51
	v_add_f32_e32 v48, v48, v53
	v_mul_f32_e32 v53, 0x3f52af12, v43
	v_add_f32_e32 v47, v47, v49
	v_fma_f32 v49, v36, s15, -v52
	v_add_f32_e32 v47, v47, v49
	v_fma_f32 v49, v40, s8, -v53
	v_add_f32_e32 v47, v47, v49
	v_mul_f32_e32 v49, 0xbf7e222b, v37
	v_mov_b32_e32 v50, v49
	v_mul_f32_e32 v51, 0xbe750f2a, v38
	v_fmac_f32_e32 v50, 0x3df6dbef, v5
	v_mov_b32_e32 v52, v51
	v_add_f32_e32 v50, v8, v50
	v_fmac_f32_e32 v52, 0xbf788fa5, v7
	v_add_f32_e32 v50, v50, v52
	v_mul_f32_e32 v52, 0x3f6f5d39, v39
	v_mov_b32_e32 v54, v53
	v_mov_b32_e32 v53, v52
	v_fmac_f32_e32 v53, 0xbeb58ec6, v34
	v_fmac_f32_e32 v54, 0x3f116cb1, v40
	v_add_f32_e32 v50, v50, v53
	v_mul_f32_e32 v53, 0x3eedf032, v41
	v_add_f32_e32 v48, v48, v54
	;; [unrolled: 36-line block ×3, first 2 shown]
	v_mov_b32_e32 v56, v55
	v_fmac_f32_e32 v56, 0xbf3f9e67, v35
	v_fma_f32 v51, v5, s8, -v51
	v_add_f32_e32 v52, v52, v56
	v_mul_f32_e32 v56, 0x3f7e222b, v42
	v_add_f32_e32 v51, v8, v51
	v_fma_f32 v53, v7, s7, -v53
	v_mov_b32_e32 v57, v56
	v_add_f32_e32 v51, v51, v53
	v_fma_f32 v53, v34, s15, -v54
	v_fmac_f32_e32 v57, 0x3df6dbef, v36
	v_add_f32_e32 v51, v51, v53
	v_fma_f32 v53, v35, s9, -v55
	v_add_f32_e32 v52, v52, v57
	v_mul_f32_e32 v57, 0x3eedf032, v43
	v_add_f32_e32 v51, v51, v53
	v_fma_f32 v53, v36, s6, -v56
	v_add_f32_e32 v51, v51, v53
	v_fma_f32 v53, v40, s14, -v57
	v_mul_f32_e32 v37, 0xbeedf032, v37
	v_add_f32_e32 v51, v51, v53
	v_mov_b32_e32 v53, v37
	v_mul_f32_e32 v38, 0xbf52af12, v38
	v_fmac_f32_e32 v53, 0x3f62ad3f, v5
	v_mov_b32_e32 v54, v38
	v_fma_f32 v5, v5, s14, -v37
	v_fmac_f32_e32 v54, 0x3f116cb1, v7
	v_mul_f32_e32 v39, 0xbf7e222b, v39
	v_add_f32_e32 v5, v8, v5
	v_fma_f32 v7, v7, s8, -v38
	v_mul_f32_e32 v41, 0xbf6f5d39, v41
	v_add_f32_e32 v5, v5, v7
	v_fma_f32 v7, v34, s6, -v39
	;; [unrolled: 3-line block ×4, first 2 shown]
	v_add_f32_e32 v5, v5, v7
	v_fma_f32 v7, v40, s15, -v43
	v_add_f32_e32 v5, v5, v7
	v_add_f32_e32 v7, v8, v10
	;; [unrolled: 1-line block ×7, first 2 shown]
	v_mov_b32_e32 v54, v39
	v_add_f32_e32 v7, v7, v18
	v_fmac_f32_e32 v54, 0x3df6dbef, v34
	v_add_f32_e32 v7, v7, v20
	v_add_f32_e32 v53, v53, v54
	v_mov_b32_e32 v54, v41
	v_add_f32_e32 v7, v7, v32
	v_fmac_f32_e32 v54, 0xbeb58ec6, v35
	v_add_f32_e32 v7, v30, v7
	v_add_f32_e32 v53, v53, v54
	v_mov_b32_e32 v54, v42
	v_add_f32_e32 v7, v28, v7
	v_fmac_f32_e32 v54, 0xbf3f9e67, v36
	v_add_f32_e32 v7, v26, v7
	v_mov_b32_e32 v58, v57
	v_add_f32_e32 v53, v53, v54
	v_mov_b32_e32 v54, v43
	v_add_f32_e32 v7, v22, v7
	v_fmac_f32_e32 v58, 0x3f62ad3f, v40
	v_fmac_f32_e32 v54, 0xbf788fa5, v40
	v_add_f32_e32 v7, v24, v7
	v_mad_u32_u24 v8, v0, 52, 0
	v_add_f32_e32 v52, v52, v58
	v_add_f32_e32 v53, v53, v54
	ds_write2_b32 v8, v7, v5 offset1:1
	ds_write2_b32 v8, v51, v49 offset0:2 offset1:3
	ds_write2_b32 v8, v47, v45 offset0:4 offset1:5
	;; [unrolled: 1-line block ×5, first 2 shown]
	ds_write_b32 v8, v53 offset:48
.LBB0_13:
	s_or_b64 exec, exec, s[2:3]
	v_sub_f32_e32 v50, v10, v24
	v_add_f32_e32 v48, v11, v25
	v_mul_f32_e32 v49, 0xbe750f2a, v50
	v_sub_f32_e32 v47, v12, v22
	v_fma_f32 v5, v48, s15, -v49
	v_add_f32_e32 v45, v13, v23
	v_mul_f32_e32 v46, 0x3eedf032, v47
	v_sub_f32_e32 v44, v14, v26
	v_add_f32_e32 v5, v9, v5
	v_fma_f32 v7, v45, s14, -v46
	v_add_f32_e32 v42, v15, v27
	v_mul_f32_e32 v43, 0xbf29c268, v44
	v_sub_f32_e32 v41, v16, v28
	v_add_f32_e32 v5, v5, v7
	;; [unrolled: 5-line block ×3, first 2 shown]
	v_fma_f32 v7, v40, s8, -v28
	v_add_f32_e32 v24, v19, v31
	v_mul_f32_e32 v18, 0xbf6f5d39, v26
	v_add_f32_e32 v5, v5, v7
	v_fma_f32 v7, v24, s7, -v18
	v_lshl_add_u32 v22, v0, 2, 0
	v_add_f32_e32 v8, v5, v7
	v_add_u32_e32 v7, 0x200, v22
	v_add_u32_e32 v10, 0x600, v22
	s_waitcnt lgkmcnt(0)
	s_barrier
	ds_read2_b32 v[34:35], v22 offset1:104
	ds_read2_b32 v[38:39], v7 offset0:80 offset1:184
	ds_read2_b32 v[36:37], v10 offset0:32 offset1:136
	ds_read_b32 v5, v22 offset:2496
	v_sub_f32_e32 v16, v20, v32
	v_add_f32_e32 v12, v21, v33
	v_mul_f32_e32 v14, 0x3f7e222b, v16
	v_fma_f32 v20, v12, s6, -v14
	v_add_f32_e32 v8, v8, v20
	s_waitcnt lgkmcnt(0)
	s_barrier
	s_and_saveexec_b64 s[2:3], s[0:1]
	s_cbranch_execz .LBB0_15
; %bb.14:
	v_add_f32_e32 v11, v9, v11
	v_add_f32_e32 v11, v11, v13
	;; [unrolled: 1-line block ×11, first 2 shown]
	v_mul_f32_e32 v29, 0xbf29c268, v50
	v_mul_f32_e32 v20, 0xbf788fa5, v48
	v_add_f32_e32 v11, v25, v11
	v_mul_f32_e32 v13, 0xbeedf032, v50
	s_mov_b32 s0, 0x3f62ad3f
	v_mul_f32_e32 v17, 0xbf52af12, v50
	s_mov_b32 s1, 0x3f116cb1
	v_mul_f32_e32 v21, 0xbf7e222b, v50
	v_mul_f32_e32 v25, 0xbf6f5d39, v50
	s_mov_b32 s8, 0xbf3f9e67
	v_mov_b32_e32 v31, v29
	v_fma_f32 v15, v48, s0, -v13
	v_fmac_f32_e32 v13, 0x3f62ad3f, v48
	v_fma_f32 v19, v48, s1, -v17
	v_fmac_f32_e32 v17, 0x3f116cb1, v48
	;; [unrolled: 2-line block ×4, first 2 shown]
	v_fmac_f32_e32 v31, 0xbf3f9e67, v48
	v_fma_f32 v29, v48, s8, -v29
	v_add_f32_e32 v20, v20, v49
	v_add_f32_e32 v13, v9, v13
	;; [unrolled: 1-line block ×12, first 2 shown]
	v_mul_f32_e32 v20, 0xbf52af12, v47
	v_fma_f32 v33, v45, s1, -v20
	v_fmac_f32_e32 v20, 0x3f116cb1, v45
	v_add_f32_e32 v13, v13, v20
	v_mul_f32_e32 v20, 0xbf6f5d39, v47
	v_add_f32_e32 v15, v15, v33
	v_fma_f32 v33, v45, s7, -v20
	v_fmac_f32_e32 v20, 0xbeb58ec6, v45
	v_add_f32_e32 v17, v17, v20
	v_mul_f32_e32 v20, 0xbe750f2a, v47
	s_mov_b32 s9, 0xbf788fa5
	v_add_f32_e32 v19, v19, v33
	v_fma_f32 v33, v45, s9, -v20
	v_fmac_f32_e32 v20, 0xbf788fa5, v45
	v_add_f32_e32 v20, v21, v20
	v_add_f32_e32 v21, v23, v33
	v_mul_f32_e32 v23, 0x3f29c268, v47
	v_fma_f32 v33, v45, s8, -v23
	v_fmac_f32_e32 v23, 0xbf3f9e67, v45
	v_add_f32_e32 v23, v25, v23
	v_add_f32_e32 v25, v27, v33
	v_mul_f32_e32 v27, 0x3f7e222b, v47
	v_mul_f32_e32 v30, 0x3f62ad3f, v45
	v_mov_b32_e32 v33, v27
	v_fma_f32 v27, v45, s6, -v27
	v_add_f32_e32 v27, v29, v27
	v_add_f32_e32 v29, v30, v46
	v_add_f32_e32 v9, v9, v29
	v_mul_f32_e32 v29, 0xbf7e222b, v44
	v_fma_f32 v30, v42, s6, -v29
	v_fmac_f32_e32 v29, 0x3df6dbef, v42
	v_add_f32_e32 v13, v13, v29
	v_mul_f32_e32 v29, 0xbe750f2a, v44
	v_add_f32_e32 v15, v15, v30
	v_fma_f32 v30, v42, s9, -v29
	v_fmac_f32_e32 v29, 0xbf788fa5, v42
	v_add_f32_e32 v17, v17, v29
	v_mul_f32_e32 v29, 0x3f6f5d39, v44
	v_add_f32_e32 v19, v19, v30
	;; [unrolled: 5-line block ×3, first 2 shown]
	v_fma_f32 v30, v42, s0, -v29
	v_fmac_f32_e32 v29, 0x3f62ad3f, v42
	v_add_f32_e32 v23, v23, v29
	v_mul_f32_e32 v29, 0xbf52af12, v44
	v_mul_f32_e32 v32, 0xbf3f9e67, v42
	v_add_f32_e32 v25, v25, v30
	v_mov_b32_e32 v30, v29
	v_fma_f32 v29, v42, s1, -v29
	v_fmac_f32_e32 v33, 0x3df6dbef, v45
	v_add_f32_e32 v27, v27, v29
	v_add_f32_e32 v29, v32, v43
	;; [unrolled: 1-line block ×3, first 2 shown]
	v_fmac_f32_e32 v30, 0x3f116cb1, v42
	v_add_f32_e32 v9, v9, v29
	v_mul_f32_e32 v29, 0xbf6f5d39, v41
	v_add_f32_e32 v30, v31, v30
	v_fma_f32 v31, v40, s7, -v29
	v_fmac_f32_e32 v29, 0xbeb58ec6, v40
	v_add_f32_e32 v13, v13, v29
	v_mul_f32_e32 v29, 0x3f29c268, v41
	v_add_f32_e32 v15, v15, v31
	v_fma_f32 v31, v40, s8, -v29
	;; [unrolled: 5-line block ×3, first 2 shown]
	v_fmac_f32_e32 v29, 0x3f62ad3f, v40
	v_add_f32_e32 v20, v20, v29
	v_mul_f32_e32 v29, 0xbf7e222b, v41
	v_mul_f32_e32 v51, 0x3f116cb1, v40
	v_add_f32_e32 v21, v21, v31
	v_fma_f32 v31, v40, s6, -v29
	v_fmac_f32_e32 v29, 0x3df6dbef, v40
	v_add_f32_e32 v23, v23, v29
	v_mul_f32_e32 v29, 0x3e750f2a, v41
	v_add_f32_e32 v28, v51, v28
	v_add_f32_e32 v25, v25, v31
	v_mov_b32_e32 v31, v29
	v_fma_f32 v29, v40, s9, -v29
	v_add_f32_e32 v9, v9, v28
	v_mul_f32_e32 v28, 0xbf29c268, v26
	v_add_f32_e32 v27, v27, v29
	v_fma_f32 v29, v24, s8, -v28
	v_fmac_f32_e32 v28, 0xbf3f9e67, v24
	v_add_f32_e32 v13, v13, v28
	v_mul_f32_e32 v28, 0x3f7e222b, v26
	v_add_f32_e32 v15, v15, v29
	v_fma_f32 v29, v24, s6, -v28
	v_fmac_f32_e32 v28, 0x3df6dbef, v24
	;; [unrolled: 5-line block ×3, first 2 shown]
	v_mul_f32_e32 v52, 0xbeb58ec6, v24
	v_add_f32_e32 v20, v20, v28
	v_mul_f32_e32 v28, 0x3e750f2a, v26
	v_add_f32_e32 v21, v21, v29
	v_fma_f32 v29, v24, s9, -v28
	v_fmac_f32_e32 v28, 0xbf788fa5, v24
	v_mul_f32_e32 v26, 0x3eedf032, v26
	v_add_f32_e32 v18, v52, v18
	v_add_f32_e32 v23, v23, v28
	v_mov_b32_e32 v28, v26
	v_add_f32_e32 v9, v9, v18
	v_mul_f32_e32 v18, 0xbe750f2a, v16
	v_fmac_f32_e32 v28, 0x3f62ad3f, v24
	v_fma_f32 v24, v24, s0, -v26
	v_fma_f32 v26, v12, s9, -v18
	v_fmac_f32_e32 v18, 0xbf788fa5, v12
	v_add_f32_e32 v13, v13, v18
	v_mul_f32_e32 v18, 0x3eedf032, v16
	v_add_f32_e32 v15, v15, v26
	v_fma_f32 v26, v12, s0, -v18
	v_fmac_f32_e32 v18, 0x3f62ad3f, v12
	v_add_f32_e32 v17, v17, v18
	v_add_f32_e32 v18, v19, v26
	v_mul_f32_e32 v19, 0xbf29c268, v16
	v_fma_f32 v26, v12, s8, -v19
	v_fmac_f32_e32 v19, 0xbf3f9e67, v12
	v_add_f32_e32 v19, v20, v19
	v_add_f32_e32 v20, v21, v26
	v_mul_f32_e32 v21, 0x3f52af12, v16
	v_mul_f32_e32 v53, 0x3df6dbef, v12
	v_fmac_f32_e32 v31, 0xbf788fa5, v40
	v_add_f32_e32 v25, v25, v29
	v_fma_f32 v26, v12, s1, -v21
	v_fmac_f32_e32 v21, 0x3f116cb1, v12
	v_mul_f32_e32 v16, 0xbf6f5d39, v16
	v_add_f32_e32 v30, v30, v31
	v_add_f32_e32 v21, v23, v21
	;; [unrolled: 1-line block ×3, first 2 shown]
	v_mov_b32_e32 v25, v16
	v_add_f32_e32 v14, v53, v14
	v_add_f32_e32 v28, v30, v28
	;; [unrolled: 1-line block ×3, first 2 shown]
	v_fmac_f32_e32 v25, 0xbeb58ec6, v12
	v_fma_f32 v12, v12, s7, -v16
	v_add_f32_e32 v9, v9, v14
	v_mad_u32_u24 v14, v0, 48, v22
	v_add_f32_e32 v25, v28, v25
	v_add_f32_e32 v12, v24, v12
	ds_write2_b32 v14, v11, v13 offset1:1
	ds_write2_b32 v14, v17, v19 offset0:2 offset1:3
	ds_write2_b32 v14, v21, v25 offset0:4 offset1:5
	;; [unrolled: 1-line block ×5, first 2 shown]
	ds_write_b32 v14, v15 offset:48
.LBB0_15:
	s_or_b64 exec, exec, s[2:3]
	s_movk_i32 s0, 0x4f
	v_mul_lo_u16_sdwa v9, v0, s0 dst_sel:DWORD dst_unused:UNUSED_PAD src0_sel:BYTE_0 src1_sel:DWORD
	v_lshrrev_b16_e32 v17, 10, v9
	v_mul_lo_u16_e32 v9, 13, v17
	v_sub_u16_e32 v18, v0, v9
	v_mov_b32_e32 v9, 6
	v_mul_u32_u24_sdwa v9, v18, v9 dst_sel:DWORD dst_unused:UNUSED_PAD src0_sel:BYTE_0 src1_sel:DWORD
	v_lshlrev_b32_e32 v9, 3, v9
	s_load_dwordx2 s[2:3], s[4:5], 0x0
	s_waitcnt lgkmcnt(0)
	s_barrier
	global_load_dwordx4 v[11:14], v9, s[12:13]
	global_load_dwordx4 v[26:29], v9, s[12:13] offset:16
	global_load_dwordx4 v[30:33], v9, s[12:13] offset:32
	ds_read2_b32 v[15:16], v22 offset1:104
	ds_read2_b32 v[40:41], v7 offset0:80 offset1:184
	ds_read2_b32 v[9:10], v10 offset0:32 offset1:136
	ds_read_b32 v42, v22 offset:2496
	v_mov_b32_e32 v7, 2
	v_mul_u32_u24_e32 v17, 0x16c, v17
	v_lshlrev_b32_sdwa v7, v7, v18 dst_sel:DWORD dst_unused:UNUSED_PAD src0_sel:DWORD src1_sel:BYTE_0
	v_add3_u32 v21, 0, v17, v7
	s_mov_b32 s7, 0x3f3bfb3b
	s_mov_b32 s8, 0xbf3bfb3b
	;; [unrolled: 1-line block ×4, first 2 shown]
	s_movk_i32 s0, 0x5b
	v_cmp_gt_u32_e64 s[0:1], s0, v0
	s_waitcnt vmcnt(0) lgkmcnt(0)
	s_barrier
	v_mul_f32_e32 v23, v16, v12
	v_mul_f32_e32 v7, v35, v12
	;; [unrolled: 1-line block ×11, first 2 shown]
	v_fma_f32 v23, v35, v11, -v23
	v_fmac_f32_e32 v7, v16, v11
	v_fma_f32 v16, v38, v13, -v12
	v_fma_f32 v24, v39, v26, -v14
	v_fmac_f32_e32 v18, v41, v26
	v_fma_f32 v26, v36, v28, -v27
	v_fmac_f32_e32 v19, v9, v28
	v_fma_f32 v27, v37, v30, -v29
	v_fma_f32 v28, v5, v32, -v31
	v_mul_f32_e32 v25, v5, v33
	v_fmac_f32_e32 v17, v40, v13
	v_fmac_f32_e32 v20, v10, v30
	v_add_f32_e32 v5, v23, v28
	v_add_f32_e32 v10, v16, v27
	v_fmac_f32_e32 v25, v42, v32
	v_sub_f32_e32 v11, v17, v20
	v_add_f32_e32 v12, v24, v26
	v_sub_f32_e32 v13, v19, v18
	v_add_f32_e32 v14, v10, v5
	v_sub_f32_e32 v9, v7, v25
	v_sub_f32_e32 v29, v10, v5
	;; [unrolled: 1-line block ×4, first 2 shown]
	v_add_f32_e32 v30, v13, v11
	v_add_f32_e32 v12, v12, v14
	v_sub_f32_e32 v31, v13, v11
	v_sub_f32_e32 v13, v9, v13
	;; [unrolled: 1-line block ×3, first 2 shown]
	v_add_f32_e32 v14, v30, v9
	v_mul_f32_e32 v5, 0x3f4a47b2, v5
	v_mul_f32_e32 v30, 0x3d64c772, v10
	v_add_f32_e32 v9, v34, v12
	v_mul_f32_e32 v31, 0xbf08b237, v31
	v_mul_f32_e32 v32, 0x3f5ff5aa, v11
	v_fma_f32 v30, v29, s7, -v30
	v_fma_f32 v29, v29, s8, -v5
	v_fmac_f32_e32 v5, 0x3d64c772, v10
	v_mov_b32_e32 v10, v9
	v_fma_f32 v33, v11, s6, -v31
	v_fmac_f32_e32 v31, 0x3eae86e6, v13
	v_fma_f32 v32, v13, s9, -v32
	v_fmac_f32_e32 v10, 0xbf955555, v12
	v_fmac_f32_e32 v31, 0x3ee1c552, v14
	;; [unrolled: 1-line block ×4, first 2 shown]
	v_add_f32_e32 v5, v5, v10
	v_add_f32_e32 v13, v30, v10
	;; [unrolled: 1-line block ×5, first 2 shown]
	v_sub_f32_e32 v12, v13, v33
	v_add_f32_e32 v13, v33, v13
	v_sub_f32_e32 v14, v14, v32
	v_sub_f32_e32 v5, v5, v31
	ds_write2_b32 v21, v9, v10 offset1:13
	ds_write2_b32 v21, v11, v12 offset0:26 offset1:39
	ds_write2_b32 v21, v13, v14 offset0:52 offset1:65
	ds_write_b32 v21, v5 offset:312
	s_waitcnt lgkmcnt(0)
	s_barrier
	s_and_saveexec_b64 s[4:5], s[0:1]
	s_cbranch_execz .LBB0_17
; %bb.16:
	v_add_u32_e32 v5, 0x200, v22
	ds_read2_b32 v[11:12], v5 offset0:54 offset1:145
	v_add_u32_e32 v5, 0x400, v22
	ds_read2_b32 v[13:14], v5 offset0:108 offset1:199
	v_add_u32_e32 v5, 0x800, v22
	ds_read2_b32 v[9:10], v22 offset1:91
	ds_read2_b32 v[5:6], v5 offset0:34 offset1:125
.LBB0_17:
	s_or_b64 exec, exec, s[4:5]
	v_add_f32_e32 v7, v7, v25
	v_add_f32_e32 v17, v17, v20
	;; [unrolled: 1-line block ×4, first 2 shown]
	v_sub_f32_e32 v23, v23, v28
	v_sub_f32_e32 v16, v16, v27
	v_sub_f32_e32 v19, v26, v24
	v_sub_f32_e32 v24, v17, v7
	v_sub_f32_e32 v7, v7, v18
	v_sub_f32_e32 v17, v18, v17
	v_add_f32_e32 v18, v18, v20
	v_add_f32_e32 v25, v19, v16
	v_sub_f32_e32 v26, v19, v16
	v_sub_f32_e32 v16, v16, v23
	v_add_f32_e32 v15, v15, v18
	v_sub_f32_e32 v19, v23, v19
	v_add_f32_e32 v20, v25, v23
	v_mul_f32_e32 v7, 0x3f4a47b2, v7
	v_mul_f32_e32 v23, 0x3d64c772, v17
	v_mul_f32_e32 v25, 0xbf08b237, v26
	v_mul_f32_e32 v26, 0x3f5ff5aa, v16
	v_mov_b32_e32 v27, v15
	v_fmac_f32_e32 v27, 0xbf955555, v18
	v_fma_f32 v18, v24, s7, -v23
	v_fma_f32 v23, v24, s8, -v7
	v_fmac_f32_e32 v7, 0x3d64c772, v17
	v_fma_f32 v24, v16, s6, -v25
	v_fmac_f32_e32 v25, 0x3eae86e6, v19
	v_fma_f32 v26, v19, s9, -v26
	v_add_f32_e32 v7, v7, v27
	v_add_f32_e32 v19, v18, v27
	;; [unrolled: 1-line block ×3, first 2 shown]
	v_fmac_f32_e32 v25, 0x3ee1c552, v20
	v_fmac_f32_e32 v24, 0x3ee1c552, v20
	;; [unrolled: 1-line block ×3, first 2 shown]
	v_sub_f32_e32 v16, v7, v25
	v_sub_f32_e32 v17, v23, v26
	v_add_f32_e32 v18, v24, v19
	v_sub_f32_e32 v19, v19, v24
	v_add_f32_e32 v20, v26, v23
	v_add_f32_e32 v7, v25, v7
	s_waitcnt lgkmcnt(0)
	s_barrier
	ds_write2_b32 v21, v15, v16 offset1:13
	ds_write2_b32 v21, v17, v18 offset0:26 offset1:39
	ds_write2_b32 v21, v19, v20 offset0:52 offset1:65
	ds_write_b32 v21, v7 offset:312
	s_waitcnt lgkmcnt(0)
	s_barrier
	s_and_saveexec_b64 s[4:5], s[0:1]
	s_cbranch_execnz .LBB0_20
; %bb.18:
	s_or_b64 exec, exec, s[4:5]
	s_and_b64 s[0:1], vcc, s[0:1]
	s_and_saveexec_b64 s[4:5], s[0:1]
	s_cbranch_execnz .LBB0_21
.LBB0_19:
	s_endpgm
.LBB0_20:
	v_add_u32_e32 v7, 0x200, v22
	ds_read2_b32 v[17:18], v7 offset0:54 offset1:145
	v_add_u32_e32 v7, 0x400, v22
	ds_read2_b32 v[19:20], v7 offset0:108 offset1:199
	v_add_u32_e32 v7, 0x800, v22
	ds_read2_b32 v[15:16], v22 offset1:91
	ds_read2_b32 v[7:8], v7 offset0:34 offset1:125
	s_or_b64 exec, exec, s[4:5]
	s_and_b64 s[0:1], vcc, s[0:1]
	s_and_saveexec_b64 s[4:5], s[0:1]
	s_cbranch_execz .LBB0_19
.LBB0_21:
	v_mul_u32_u24_e32 v21, 7, v0
	v_lshlrev_b32_e32 v35, 3, v21
	global_load_dwordx4 v[21:24], v35, s[12:13] offset:624
	global_load_dwordx4 v[25:28], v35, s[12:13] offset:656
	;; [unrolled: 1-line block ×3, first 2 shown]
	global_load_dwordx2 v[33:34], v35, s[12:13] offset:672
	v_mul_lo_u32 v37, s3, v3
	v_mul_lo_u32 v38, s2, v4
	v_mad_u64_u32 v[3:4], s[0:1], s2, v3, 0
	v_mad_u64_u32 v[35:36], s[0:1], s20, v0, 0
	v_add3_u32 v4, v4, v38, v37
	v_lshlrev_b64 v[3:4], 3, v[3:4]
	v_lshlrev_b64 v[1:2], 3, v[1:2]
	s_waitcnt vmcnt(3) lgkmcnt(3)
	v_mul_f32_e32 v37, v17, v24
	s_waitcnt vmcnt(2) lgkmcnt(0)
	v_mul_f32_e32 v38, v7, v28
	s_waitcnt vmcnt(1)
	v_mul_f32_e32 v39, v19, v31
	v_mul_f32_e32 v40, v16, v22
	;; [unrolled: 1-line block ×4, first 2 shown]
	s_waitcnt vmcnt(0)
	v_mul_f32_e32 v43, v8, v33
	v_mul_f32_e32 v18, v18, v30
	;; [unrolled: 1-line block ×8, first 2 shown]
	v_fma_f32 v11, v11, v23, -v37
	v_fma_f32 v5, v5, v27, -v38
	v_fmac_f32_e32 v39, v13, v32
	v_fma_f32 v10, v10, v21, -v40
	v_fma_f32 v14, v14, v25, -v41
	v_fmac_f32_e32 v42, v12, v30
	v_fmac_f32_e32 v43, v6, v34
	v_fma_f32 v12, v12, v29, -v18
	v_fma_f32 v6, v6, v33, -v8
	v_fmac_f32_e32 v22, v16, v21
	v_fmac_f32_e32 v26, v20, v25
	v_fma_f32 v8, v13, v31, -v19
	v_fmac_f32_e32 v24, v17, v23
	v_fmac_f32_e32 v28, v7, v27
	v_sub_f32_e32 v5, v11, v5
	v_sub_f32_e32 v7, v15, v39
	v_sub_f32_e32 v13, v10, v14
	v_sub_f32_e32 v14, v42, v43
	v_sub_f32_e32 v6, v12, v6
	v_sub_f32_e32 v16, v22, v26
	v_sub_f32_e32 v8, v9, v8
	v_sub_f32_e32 v17, v24, v28
	v_add_f32_e32 v18, v5, v7
	v_add_f32_e32 v20, v16, v6
	v_sub_f32_e32 v21, v8, v17
	v_fma_f32 v15, v15, 2.0, -v7
	v_fma_f32 v17, v24, 2.0, -v17
	;; [unrolled: 1-line block ×8, first 2 shown]
	v_mov_b32_e32 v6, v18
	v_fma_f32 v22, v7, 2.0, -v18
	v_sub_f32_e32 v19, v13, v14
	v_mov_b32_e32 v5, v21
	v_sub_f32_e32 v14, v15, v17
	v_sub_f32_e32 v25, v23, v10
	;; [unrolled: 1-line block ×4, first 2 shown]
	v_fma_f32 v16, v16, 2.0, -v20
	v_fma_f32 v27, v8, 2.0, -v21
	v_fmac_f32_e32 v6, 0x3f3504f3, v20
	v_mov_b32_e32 v10, v22
	v_fma_f32 v26, v13, 2.0, -v19
	v_fmac_f32_e32 v5, 0x3f3504f3, v19
	v_add_f32_e32 v8, v14, v25
	v_sub_f32_e32 v7, v17, v12
	v_mov_b32_e32 v9, v27
	v_fma_f32 v28, v15, 2.0, -v14
	v_fma_f32 v29, v11, 2.0, -v12
	v_fmac_f32_e32 v6, 0x3f3504f3, v19
	v_fmac_f32_e32 v10, 0xbf3504f3, v16
	;; [unrolled: 1-line block ×3, first 2 shown]
	v_fma_f32 v12, v14, 2.0, -v8
	v_fma_f32 v11, v17, 2.0, -v7
	v_fmac_f32_e32 v9, 0xbf3504f3, v26
	v_fma_f32 v14, v18, 2.0, -v6
	v_fmac_f32_e32 v10, 0x3f3504f3, v26
	v_sub_f32_e32 v18, v28, v29
	v_fma_f32 v19, v24, 2.0, -v17
	v_mov_b32_e32 v17, v36
	v_fma_f32 v13, v21, 2.0, -v5
	v_fmac_f32_e32 v9, 0xbf3504f3, v16
	v_fma_f32 v16, v22, 2.0, -v10
	v_mad_u64_u32 v[21:22], s[0:1], s21, v0, v[17:18]
	v_fma_f32 v17, v23, 2.0, -v25
	v_add_co_u32_e32 v22, vcc, s10, v3
	v_mov_b32_e32 v36, v21
	v_mov_b32_e32 v21, s11
	v_add_u32_e32 v23, 0x5b, v0
	v_addc_co_u32_e32 v21, vcc, v21, v4, vcc
	v_mad_u64_u32 v[3:4], s[0:1], s20, v23, 0
	v_add_co_u32_e32 v24, vcc, v22, v1
	v_addc_co_u32_e32 v25, vcc, v21, v2, vcc
	v_lshlrev_b64 v[1:2], 3, v[35:36]
	v_mad_u64_u32 v[21:22], s[0:1], s21, v23, v[4:5]
	v_sub_f32_e32 v17, v19, v17
	v_add_co_u32_e32 v1, vcc, v24, v1
	v_fma_f32 v20, v28, 2.0, -v18
	v_fma_f32 v19, v19, 2.0, -v17
	v_addc_co_u32_e32 v2, vcc, v25, v2, vcc
	global_store_dwordx2 v[1:2], v[19:20], off
	v_mov_b32_e32 v4, v21
	v_add_u32_e32 v19, 0xb6, v0
	v_lshlrev_b64 v[1:2], 3, v[3:4]
	v_mad_u64_u32 v[3:4], s[0:1], s20, v19, 0
	v_add_u32_e32 v22, 0x111, v0
	v_add_co_u32_e32 v1, vcc, v24, v1
	v_mad_u64_u32 v[19:20], s[0:1], s21, v19, v[4:5]
	v_mad_u64_u32 v[20:21], s[0:1], s20, v22, 0
	v_fma_f32 v15, v27, 2.0, -v9
	v_addc_co_u32_e32 v2, vcc, v25, v2, vcc
	v_mov_b32_e32 v4, v19
	global_store_dwordx2 v[1:2], v[15:16], off
	v_lshlrev_b64 v[1:2], 3, v[3:4]
	v_mov_b32_e32 v3, v21
	v_mad_u64_u32 v[3:4], s[0:1], s21, v22, v[3:4]
	v_add_co_u32_e32 v1, vcc, v24, v1
	v_addc_co_u32_e32 v2, vcc, v25, v2, vcc
	global_store_dwordx2 v[1:2], v[11:12], off
	v_add_u32_e32 v11, 0x16c, v0
	v_mov_b32_e32 v21, v3
	v_mad_u64_u32 v[3:4], s[0:1], s20, v11, 0
	v_lshlrev_b64 v[1:2], 3, v[20:21]
	v_mad_u64_u32 v[11:12], s[0:1], s21, v11, v[4:5]
	v_add_u32_e32 v12, 0x1c7, v0
	v_mad_u64_u32 v[15:16], s[0:1], s20, v12, 0
	v_add_co_u32_e32 v1, vcc, v24, v1
	v_addc_co_u32_e32 v2, vcc, v25, v2, vcc
	v_mov_b32_e32 v4, v11
	global_store_dwordx2 v[1:2], v[13:14], off
	v_lshlrev_b64 v[1:2], 3, v[3:4]
	v_mov_b32_e32 v3, v16
	v_mad_u64_u32 v[3:4], s[0:1], s21, v12, v[3:4]
	v_add_u32_e32 v11, 0x222, v0
	v_add_co_u32_e32 v1, vcc, v24, v1
	v_mov_b32_e32 v16, v3
	v_mad_u64_u32 v[3:4], s[0:1], s20, v11, 0
	v_addc_co_u32_e32 v2, vcc, v25, v2, vcc
	v_mad_u64_u32 v[11:12], s[0:1], s21, v11, v[4:5]
	v_add_u32_e32 v14, 0x27d, v0
	global_store_dwordx2 v[1:2], v[17:18], off
	v_lshlrev_b64 v[1:2], 3, v[15:16]
	v_mad_u64_u32 v[12:13], s[0:1], s20, v14, 0
	v_add_co_u32_e32 v1, vcc, v24, v1
	v_addc_co_u32_e32 v2, vcc, v25, v2, vcc
	global_store_dwordx2 v[1:2], v[9:10], off
	v_mov_b32_e32 v4, v11
	v_mov_b32_e32 v2, v13
	v_lshlrev_b64 v[0:1], 3, v[3:4]
	v_mad_u64_u32 v[2:3], s[0:1], s21, v14, v[2:3]
	v_add_co_u32_e32 v0, vcc, v24, v0
	v_addc_co_u32_e32 v1, vcc, v25, v1, vcc
	v_mov_b32_e32 v13, v2
	global_store_dwordx2 v[0:1], v[7:8], off
	v_lshlrev_b64 v[0:1], 3, v[12:13]
	v_add_co_u32_e32 v0, vcc, v24, v0
	v_addc_co_u32_e32 v1, vcc, v25, v1, vcc
	global_store_dwordx2 v[0:1], v[5:6], off
	s_endpgm
	.section	.rodata,"a",@progbits
	.p2align	6, 0x0
	.amdhsa_kernel fft_rtc_fwd_len728_factors_13_7_8_wgs_104_tpt_104_halfLds_sp_op_CI_CI_sbrr_dirReg
		.amdhsa_group_segment_fixed_size 0
		.amdhsa_private_segment_fixed_size 0
		.amdhsa_kernarg_size 104
		.amdhsa_user_sgpr_count 6
		.amdhsa_user_sgpr_private_segment_buffer 1
		.amdhsa_user_sgpr_dispatch_ptr 0
		.amdhsa_user_sgpr_queue_ptr 0
		.amdhsa_user_sgpr_kernarg_segment_ptr 1
		.amdhsa_user_sgpr_dispatch_id 0
		.amdhsa_user_sgpr_flat_scratch_init 0
		.amdhsa_user_sgpr_private_segment_size 0
		.amdhsa_uses_dynamic_stack 0
		.amdhsa_system_sgpr_private_segment_wavefront_offset 0
		.amdhsa_system_sgpr_workgroup_id_x 1
		.amdhsa_system_sgpr_workgroup_id_y 0
		.amdhsa_system_sgpr_workgroup_id_z 0
		.amdhsa_system_sgpr_workgroup_info 0
		.amdhsa_system_vgpr_workitem_id 0
		.amdhsa_next_free_vgpr 59
		.amdhsa_next_free_sgpr 32
		.amdhsa_reserve_vcc 1
		.amdhsa_reserve_flat_scratch 0
		.amdhsa_float_round_mode_32 0
		.amdhsa_float_round_mode_16_64 0
		.amdhsa_float_denorm_mode_32 3
		.amdhsa_float_denorm_mode_16_64 3
		.amdhsa_dx10_clamp 1
		.amdhsa_ieee_mode 1
		.amdhsa_fp16_overflow 0
		.amdhsa_exception_fp_ieee_invalid_op 0
		.amdhsa_exception_fp_denorm_src 0
		.amdhsa_exception_fp_ieee_div_zero 0
		.amdhsa_exception_fp_ieee_overflow 0
		.amdhsa_exception_fp_ieee_underflow 0
		.amdhsa_exception_fp_ieee_inexact 0
		.amdhsa_exception_int_div_zero 0
	.end_amdhsa_kernel
	.text
.Lfunc_end0:
	.size	fft_rtc_fwd_len728_factors_13_7_8_wgs_104_tpt_104_halfLds_sp_op_CI_CI_sbrr_dirReg, .Lfunc_end0-fft_rtc_fwd_len728_factors_13_7_8_wgs_104_tpt_104_halfLds_sp_op_CI_CI_sbrr_dirReg
                                        ; -- End function
	.section	.AMDGPU.csdata,"",@progbits
; Kernel info:
; codeLenInByte = 7160
; NumSgprs: 36
; NumVgprs: 59
; ScratchSize: 0
; MemoryBound: 0
; FloatMode: 240
; IeeeMode: 1
; LDSByteSize: 0 bytes/workgroup (compile time only)
; SGPRBlocks: 4
; VGPRBlocks: 14
; NumSGPRsForWavesPerEU: 36
; NumVGPRsForWavesPerEU: 59
; Occupancy: 4
; WaveLimiterHint : 1
; COMPUTE_PGM_RSRC2:SCRATCH_EN: 0
; COMPUTE_PGM_RSRC2:USER_SGPR: 6
; COMPUTE_PGM_RSRC2:TRAP_HANDLER: 0
; COMPUTE_PGM_RSRC2:TGID_X_EN: 1
; COMPUTE_PGM_RSRC2:TGID_Y_EN: 0
; COMPUTE_PGM_RSRC2:TGID_Z_EN: 0
; COMPUTE_PGM_RSRC2:TIDIG_COMP_CNT: 0
	.type	__hip_cuid_38e201d19da05d2f,@object ; @__hip_cuid_38e201d19da05d2f
	.section	.bss,"aw",@nobits
	.globl	__hip_cuid_38e201d19da05d2f
__hip_cuid_38e201d19da05d2f:
	.byte	0                               ; 0x0
	.size	__hip_cuid_38e201d19da05d2f, 1

	.ident	"AMD clang version 19.0.0git (https://github.com/RadeonOpenCompute/llvm-project roc-6.4.0 25133 c7fe45cf4b819c5991fe208aaa96edf142730f1d)"
	.section	".note.GNU-stack","",@progbits
	.addrsig
	.addrsig_sym __hip_cuid_38e201d19da05d2f
	.amdgpu_metadata
---
amdhsa.kernels:
  - .args:
      - .actual_access:  read_only
        .address_space:  global
        .offset:         0
        .size:           8
        .value_kind:     global_buffer
      - .offset:         8
        .size:           8
        .value_kind:     by_value
      - .actual_access:  read_only
        .address_space:  global
        .offset:         16
        .size:           8
        .value_kind:     global_buffer
      - .actual_access:  read_only
        .address_space:  global
        .offset:         24
        .size:           8
        .value_kind:     global_buffer
      - .actual_access:  read_only
        .address_space:  global
        .offset:         32
        .size:           8
        .value_kind:     global_buffer
      - .offset:         40
        .size:           8
        .value_kind:     by_value
      - .actual_access:  read_only
        .address_space:  global
        .offset:         48
        .size:           8
        .value_kind:     global_buffer
      - .actual_access:  read_only
        .address_space:  global
        .offset:         56
        .size:           8
        .value_kind:     global_buffer
      - .offset:         64
        .size:           4
        .value_kind:     by_value
      - .actual_access:  read_only
        .address_space:  global
        .offset:         72
        .size:           8
        .value_kind:     global_buffer
      - .actual_access:  read_only
        .address_space:  global
        .offset:         80
        .size:           8
        .value_kind:     global_buffer
      - .actual_access:  read_only
        .address_space:  global
        .offset:         88
        .size:           8
        .value_kind:     global_buffer
      - .actual_access:  write_only
        .address_space:  global
        .offset:         96
        .size:           8
        .value_kind:     global_buffer
    .group_segment_fixed_size: 0
    .kernarg_segment_align: 8
    .kernarg_segment_size: 104
    .language:       OpenCL C
    .language_version:
      - 2
      - 0
    .max_flat_workgroup_size: 104
    .name:           fft_rtc_fwd_len728_factors_13_7_8_wgs_104_tpt_104_halfLds_sp_op_CI_CI_sbrr_dirReg
    .private_segment_fixed_size: 0
    .sgpr_count:     36
    .sgpr_spill_count: 0
    .symbol:         fft_rtc_fwd_len728_factors_13_7_8_wgs_104_tpt_104_halfLds_sp_op_CI_CI_sbrr_dirReg.kd
    .uniform_work_group_size: 1
    .uses_dynamic_stack: false
    .vgpr_count:     59
    .vgpr_spill_count: 0
    .wavefront_size: 64
amdhsa.target:   amdgcn-amd-amdhsa--gfx906
amdhsa.version:
  - 1
  - 2
...

	.end_amdgpu_metadata
